;; amdgpu-corpus repo=ROCm/rocFFT kind=compiled arch=gfx950 opt=O3
	.text
	.amdgcn_target "amdgcn-amd-amdhsa--gfx950"
	.amdhsa_code_object_version 6
	.protected	fft_rtc_back_len1280_factors_16_5_16_wgs_80_tpt_80_halfLds_sp_op_CI_CI_sbrr_dirReg ; -- Begin function fft_rtc_back_len1280_factors_16_5_16_wgs_80_tpt_80_halfLds_sp_op_CI_CI_sbrr_dirReg
	.globl	fft_rtc_back_len1280_factors_16_5_16_wgs_80_tpt_80_halfLds_sp_op_CI_CI_sbrr_dirReg
	.p2align	8
	.type	fft_rtc_back_len1280_factors_16_5_16_wgs_80_tpt_80_halfLds_sp_op_CI_CI_sbrr_dirReg,@function
fft_rtc_back_len1280_factors_16_5_16_wgs_80_tpt_80_halfLds_sp_op_CI_CI_sbrr_dirReg: ; @fft_rtc_back_len1280_factors_16_5_16_wgs_80_tpt_80_halfLds_sp_op_CI_CI_sbrr_dirReg
; %bb.0:
	s_load_dwordx4 s[12:15], s[0:1], 0x18
	s_load_dwordx4 s[4:7], s[0:1], 0x0
	;; [unrolled: 1-line block ×3, first 2 shown]
	v_mul_u32_u24_e32 v1, 0x334, v0
	v_add_u32_sdwa v8, s2, v1 dst_sel:DWORD dst_unused:UNUSED_PAD src0_sel:DWORD src1_sel:WORD_1
	s_waitcnt lgkmcnt(0)
	s_load_dwordx2 s[18:19], s[12:13], 0x0
	s_load_dwordx2 s[16:17], s[14:15], 0x0
	v_mov_b32_e32 v6, 0
	v_cmp_lt_u64_e64 s[2:3], s[6:7], 2
	v_mov_b32_e32 v9, v6
	s_and_b64 vcc, exec, s[2:3]
	v_mov_b64_e32 v[2:3], 0
	s_cbranch_vccnz .LBB0_8
; %bb.1:
	s_load_dwordx2 s[2:3], s[0:1], 0x10
	s_add_u32 s20, s14, 8
	s_addc_u32 s21, s15, 0
	s_add_u32 s22, s12, 8
	s_addc_u32 s23, s13, 0
	s_waitcnt lgkmcnt(0)
	s_add_u32 s24, s2, 8
	v_mov_b64_e32 v[2:3], 0
	s_addc_u32 s25, s3, 0
	s_mov_b64 s[26:27], 1
	v_mov_b64_e32 v[20:21], v[2:3]
.LBB0_2:                                ; =>This Inner Loop Header: Depth=1
	s_load_dwordx2 s[28:29], s[24:25], 0x0
                                        ; implicit-def: $vgpr4_vgpr5
	s_waitcnt lgkmcnt(0)
	v_or_b32_e32 v7, s29, v9
	v_cmp_ne_u64_e32 vcc, 0, v[6:7]
	s_and_saveexec_b64 s[2:3], vcc
	s_xor_b64 s[30:31], exec, s[2:3]
	s_cbranch_execz .LBB0_4
; %bb.3:                                ;   in Loop: Header=BB0_2 Depth=1
	v_cvt_f32_u32_e32 v1, s28
	v_cvt_f32_u32_e32 v4, s29
	s_sub_u32 s2, 0, s28
	s_subb_u32 s3, 0, s29
	v_fmac_f32_e32 v1, 0x4f800000, v4
	v_rcp_f32_e32 v1, v1
	s_nop 0
	v_mul_f32_e32 v1, 0x5f7ffffc, v1
	v_mul_f32_e32 v4, 0x2f800000, v1
	v_trunc_f32_e32 v4, v4
	v_fmac_f32_e32 v1, 0xcf800000, v4
	v_cvt_u32_f32_e32 v7, v4
	v_cvt_u32_f32_e32 v1, v1
	v_mul_lo_u32 v4, s2, v7
	v_mul_hi_u32 v10, s2, v1
	v_mul_lo_u32 v5, s3, v1
	v_add_u32_e32 v10, v10, v4
	v_mul_lo_u32 v12, s2, v1
	v_add_u32_e32 v13, v10, v5
	v_mul_hi_u32 v4, v1, v12
	v_mul_hi_u32 v11, v1, v13
	v_mul_lo_u32 v10, v1, v13
	v_mov_b32_e32 v5, v6
	v_lshl_add_u64 v[4:5], v[4:5], 0, v[10:11]
	v_mul_hi_u32 v11, v7, v12
	v_mul_lo_u32 v12, v7, v12
	v_add_co_u32_e32 v4, vcc, v4, v12
	v_mul_hi_u32 v10, v7, v13
	s_nop 0
	v_addc_co_u32_e32 v4, vcc, v5, v11, vcc
	v_mov_b32_e32 v5, v6
	s_nop 0
	v_addc_co_u32_e32 v11, vcc, 0, v10, vcc
	v_mul_lo_u32 v10, v7, v13
	v_lshl_add_u64 v[4:5], v[4:5], 0, v[10:11]
	v_add_co_u32_e32 v1, vcc, v1, v4
	v_mul_lo_u32 v10, s2, v1
	s_nop 0
	v_addc_co_u32_e32 v7, vcc, v7, v5, vcc
	v_mul_lo_u32 v4, s2, v7
	v_mul_hi_u32 v5, s2, v1
	v_add_u32_e32 v4, v5, v4
	v_mul_lo_u32 v5, s3, v1
	v_add_u32_e32 v12, v4, v5
	v_mul_hi_u32 v14, v7, v10
	v_mul_lo_u32 v15, v7, v10
	v_mul_hi_u32 v5, v1, v12
	v_mul_lo_u32 v4, v1, v12
	v_mul_hi_u32 v10, v1, v10
	v_mov_b32_e32 v11, v6
	v_lshl_add_u64 v[4:5], v[10:11], 0, v[4:5]
	v_add_co_u32_e32 v4, vcc, v4, v15
	v_mul_hi_u32 v13, v7, v12
	s_nop 0
	v_addc_co_u32_e32 v4, vcc, v5, v14, vcc
	v_mul_lo_u32 v10, v7, v12
	s_nop 0
	v_addc_co_u32_e32 v11, vcc, 0, v13, vcc
	v_mov_b32_e32 v5, v6
	v_lshl_add_u64 v[4:5], v[4:5], 0, v[10:11]
	v_add_co_u32_e32 v1, vcc, v1, v4
	v_mul_hi_u32 v10, v8, v1
	s_nop 0
	v_addc_co_u32_e32 v7, vcc, v7, v5, vcc
	v_mad_u64_u32 v[4:5], s[2:3], v8, v7, 0
	v_mov_b32_e32 v11, v6
	v_lshl_add_u64 v[4:5], v[10:11], 0, v[4:5]
	v_mad_u64_u32 v[12:13], s[2:3], v9, v1, 0
	v_add_co_u32_e32 v1, vcc, v4, v12
	v_mad_u64_u32 v[10:11], s[2:3], v9, v7, 0
	s_nop 0
	v_addc_co_u32_e32 v4, vcc, v5, v13, vcc
	v_mov_b32_e32 v5, v6
	s_nop 0
	v_addc_co_u32_e32 v11, vcc, 0, v11, vcc
	v_lshl_add_u64 v[4:5], v[4:5], 0, v[10:11]
	v_mul_lo_u32 v1, s29, v4
	v_mul_lo_u32 v7, s28, v5
	v_mad_u64_u32 v[10:11], s[2:3], s28, v4, 0
	v_add3_u32 v1, v11, v7, v1
	v_sub_u32_e32 v7, v9, v1
	v_mov_b32_e32 v11, s29
	v_sub_co_u32_e32 v14, vcc, v8, v10
	v_lshl_add_u64 v[12:13], v[4:5], 0, 1
	s_nop 0
	v_subb_co_u32_e64 v7, s[2:3], v7, v11, vcc
	v_subrev_co_u32_e64 v10, s[2:3], s28, v14
	v_subb_co_u32_e32 v1, vcc, v9, v1, vcc
	s_nop 0
	v_subbrev_co_u32_e64 v7, s[2:3], 0, v7, s[2:3]
	v_cmp_le_u32_e64 s[2:3], s29, v7
	v_cmp_le_u32_e32 vcc, s29, v1
	s_nop 0
	v_cndmask_b32_e64 v11, 0, -1, s[2:3]
	v_cmp_le_u32_e64 s[2:3], s28, v10
	s_nop 1
	v_cndmask_b32_e64 v10, 0, -1, s[2:3]
	v_cmp_eq_u32_e64 s[2:3], s29, v7
	s_nop 1
	v_cndmask_b32_e64 v7, v11, v10, s[2:3]
	v_lshl_add_u64 v[10:11], v[4:5], 0, 2
	v_cmp_ne_u32_e64 s[2:3], 0, v7
	s_nop 1
	v_cndmask_b32_e64 v7, v13, v11, s[2:3]
	v_cndmask_b32_e64 v11, 0, -1, vcc
	v_cmp_le_u32_e32 vcc, s28, v14
	s_nop 1
	v_cndmask_b32_e64 v13, 0, -1, vcc
	v_cmp_eq_u32_e32 vcc, s29, v1
	s_nop 1
	v_cndmask_b32_e32 v1, v11, v13, vcc
	v_cmp_ne_u32_e32 vcc, 0, v1
	v_cndmask_b32_e64 v1, v12, v10, s[2:3]
	s_nop 0
	v_cndmask_b32_e32 v5, v5, v7, vcc
	v_cndmask_b32_e32 v4, v4, v1, vcc
.LBB0_4:                                ;   in Loop: Header=BB0_2 Depth=1
	s_andn2_saveexec_b64 s[2:3], s[30:31]
	s_cbranch_execz .LBB0_6
; %bb.5:                                ;   in Loop: Header=BB0_2 Depth=1
	v_cvt_f32_u32_e32 v1, s28
	s_sub_i32 s30, 0, s28
	v_rcp_iflag_f32_e32 v1, v1
	s_nop 0
	v_mul_f32_e32 v1, 0x4f7ffffe, v1
	v_cvt_u32_f32_e32 v1, v1
	v_mul_lo_u32 v4, s30, v1
	v_mul_hi_u32 v4, v1, v4
	v_add_u32_e32 v1, v1, v4
	v_mul_hi_u32 v1, v8, v1
	v_mul_lo_u32 v4, v1, s28
	v_sub_u32_e32 v4, v8, v4
	v_add_u32_e32 v5, 1, v1
	v_subrev_u32_e32 v7, s28, v4
	v_cmp_le_u32_e32 vcc, s28, v4
	s_nop 1
	v_cndmask_b32_e32 v4, v4, v7, vcc
	v_cndmask_b32_e32 v1, v1, v5, vcc
	v_add_u32_e32 v5, 1, v1
	v_cmp_le_u32_e32 vcc, s28, v4
	s_nop 1
	v_cndmask_b32_e32 v4, v1, v5, vcc
	v_mov_b32_e32 v5, v6
.LBB0_6:                                ;   in Loop: Header=BB0_2 Depth=1
	s_or_b64 exec, exec, s[2:3]
	v_mad_u64_u32 v[10:11], s[2:3], v4, s28, 0
	s_load_dwordx2 s[2:3], s[22:23], 0x0
	v_mul_lo_u32 v1, v5, s28
	v_mul_lo_u32 v7, v4, s29
	s_load_dwordx2 s[28:29], s[20:21], 0x0
	s_add_u32 s26, s26, 1
	v_add3_u32 v1, v11, v7, v1
	v_sub_co_u32_e32 v7, vcc, v8, v10
	s_addc_u32 s27, s27, 0
	s_nop 0
	v_subb_co_u32_e32 v1, vcc, v9, v1, vcc
	s_add_u32 s20, s20, 8
	s_waitcnt lgkmcnt(0)
	v_mul_lo_u32 v8, s2, v1
	v_mul_lo_u32 v9, s3, v7
	v_mad_u64_u32 v[2:3], s[2:3], s2, v7, v[2:3]
	s_addc_u32 s21, s21, 0
	v_add3_u32 v3, v9, v3, v8
	v_mul_lo_u32 v1, s28, v1
	v_mul_lo_u32 v8, s29, v7
	v_mad_u64_u32 v[20:21], s[2:3], s28, v7, v[20:21]
	s_add_u32 s22, s22, 8
	v_add3_u32 v21, v8, v21, v1
	s_addc_u32 s23, s23, 0
	v_mov_b64_e32 v[8:9], s[6:7]
	s_add_u32 s24, s24, 8
	v_cmp_ge_u64_e32 vcc, s[26:27], v[8:9]
	s_addc_u32 s25, s25, 0
	s_cbranch_vccnz .LBB0_9
; %bb.7:                                ;   in Loop: Header=BB0_2 Depth=1
	v_mov_b64_e32 v[8:9], v[4:5]
	s_branch .LBB0_2
.LBB0_8:
	v_mov_b64_e32 v[20:21], v[2:3]
	v_mov_b64_e32 v[4:5], v[8:9]
.LBB0_9:
	s_load_dwordx2 s[0:1], s[0:1], 0x28
	s_lshl_b64 s[6:7], s[6:7], 3
	s_add_u32 s2, s14, s6
	s_addc_u32 s3, s15, s7
                                        ; implicit-def: $sgpr14_sgpr15
                                        ; implicit-def: $sgpr20
                                        ; implicit-def: $vgpr58
                                        ; implicit-def: $vgpr59
                                        ; implicit-def: $vgpr60
                                        ; implicit-def: $vgpr61
	s_waitcnt lgkmcnt(0)
	v_cmp_gt_u64_e32 vcc, s[0:1], v[4:5]
	v_cmp_le_u64_e64 s[0:1], s[0:1], v[4:5]
	s_and_saveexec_b64 s[22:23], s[0:1]
	s_xor_b64 s[0:1], exec, s[22:23]
; %bb.10:
	s_mov_b32 s14, 0x3333334
	v_mul_hi_u32 v1, v0, s14
	v_mul_u32_u24_e32 v1, 0x50, v1
	v_sub_u32_e32 v58, v0, v1
	v_add_u32_e32 v59, 0x50, v58
	v_add_u32_e32 v60, 0xa0, v58
	;; [unrolled: 1-line block ×3, first 2 shown]
	s_mov_b32 s20, 0
	s_mov_b64 s[14:15], 0
                                        ; implicit-def: $vgpr0
                                        ; implicit-def: $vgpr2_vgpr3
; %bb.11:
	s_or_saveexec_b64 s[0:1], s[0:1]
	v_mov_b32_e32 v64, s20
	v_mov_b64_e32 v[6:7], s[14:15]
	v_mov_b64_e32 v[22:23], s[14:15]
	;; [unrolled: 1-line block ×8, first 2 shown]
                                        ; implicit-def: $vgpr1
                                        ; implicit-def: $vgpr29
                                        ; implicit-def: $vgpr26
                                        ; implicit-def: $vgpr10
                                        ; implicit-def: $vgpr34
                                        ; implicit-def: $vgpr32
                                        ; implicit-def: $vgpr45
                                        ; implicit-def: $vgpr31
                                        ; implicit-def: $vgpr41
                                        ; implicit-def: $vgpr39
                                        ; implicit-def: $vgpr36
	s_xor_b64 exec, exec, s[0:1]
	s_cbranch_execz .LBB0_13
; %bb.12:
	s_add_u32 s6, s12, s6
	s_addc_u32 s7, s13, s7
	s_load_dwordx2 s[6:7], s[6:7], 0x0
	s_mov_b32 s12, 0x3333334
	s_waitcnt lgkmcnt(0)
	v_mul_lo_u32 v1, s7, v4
	v_mul_lo_u32 v8, s6, v5
	v_mad_u64_u32 v[6:7], s[6:7], s6, v4, 0
	v_add3_u32 v7, v7, v8, v1
	v_mul_hi_u32 v1, v0, s12
	v_mul_u32_u24_e32 v1, 0x50, v1
	v_sub_u32_e32 v58, v0, v1
	v_mad_u64_u32 v[0:1], s[6:7], s18, v58, 0
	v_mov_b32_e32 v8, v1
	v_lshl_add_u64 v[6:7], v[6:7], 3, s[8:9]
	v_add_u32_e32 v59, 0x50, v58
	v_mad_u64_u32 v[8:9], s[6:7], s19, v58, v[8:9]
	v_lshl_add_u64 v[2:3], v[2:3], 3, v[6:7]
	v_mad_u64_u32 v[6:7], s[6:7], s18, v59, 0
	v_mov_b32_e32 v1, v8
	v_mov_b32_e32 v8, v7
	v_mad_u64_u32 v[8:9], s[6:7], s19, v59, v[8:9]
	v_mov_b32_e32 v7, v8
	v_add_u32_e32 v60, 0xa0, v58
	v_lshl_add_u64 v[10:11], v[6:7], 3, v[2:3]
	v_mad_u64_u32 v[6:7], s[6:7], s18, v60, 0
	v_mov_b32_e32 v8, v7
	v_mad_u64_u32 v[8:9], s[6:7], s19, v60, v[8:9]
	v_mov_b32_e32 v7, v8
	v_add_u32_e32 v61, 0xf0, v58
	v_lshl_add_u64 v[12:13], v[6:7], 3, v[2:3]
	v_mad_u64_u32 v[6:7], s[6:7], s18, v61, 0
	v_mov_b32_e32 v8, v7
	v_mad_u64_u32 v[8:9], s[6:7], s19, v61, v[8:9]
	v_lshl_add_u64 v[0:1], v[0:1], 3, v[2:3]
	v_mov_b32_e32 v7, v8
	v_lshl_add_u64 v[18:19], v[6:7], 3, v[2:3]
	global_load_dwordx2 v[6:7], v[0:1], off
	global_load_dwordx2 v[14:15], v[10:11], off
	;; [unrolled: 1-line block ×4, first 2 shown]
	v_add_u32_e32 v11, 0x140, v58
	v_mad_u64_u32 v[0:1], s[6:7], s18, v11, 0
	v_mov_b32_e32 v10, v1
	v_mad_u64_u32 v[10:11], s[6:7], s19, v11, v[10:11]
	v_add_u32_e32 v13, 0x190, v58
	v_mov_b32_e32 v1, v10
	v_mad_u64_u32 v[10:11], s[6:7], s18, v13, 0
	v_mov_b32_e32 v12, v11
	v_mad_u64_u32 v[12:13], s[6:7], s19, v13, v[12:13]
	v_add_u32_e32 v19, 0x1e0, v58
	v_mov_b32_e32 v11, v12
	v_mad_u64_u32 v[12:13], s[6:7], s18, v19, 0
	v_mov_b32_e32 v18, v13
	v_mad_u64_u32 v[18:19], s[6:7], s19, v19, v[18:19]
	v_mov_b32_e32 v13, v18
	v_add_u32_e32 v19, 0x230, v58
	v_lshl_add_u64 v[26:27], v[12:13], 3, v[2:3]
	v_mad_u64_u32 v[12:13], s[6:7], s18, v19, 0
	v_mov_b32_e32 v18, v13
	v_mad_u64_u32 v[18:19], s[6:7], s19, v19, v[18:19]
	v_lshl_add_u64 v[0:1], v[0:1], 3, v[2:3]
	v_lshl_add_u64 v[10:11], v[10:11], 3, v[2:3]
	v_mov_b32_e32 v13, v18
	v_lshl_add_u64 v[28:29], v[12:13], 3, v[2:3]
	global_load_dwordx2 v[22:23], v[0:1], off
	global_load_dwordx2 v[18:19], v[10:11], off
	;; [unrolled: 1-line block ×4, first 2 shown]
	v_or_b32_e32 v11, 0x280, v58
	v_mad_u64_u32 v[0:1], s[6:7], s18, v11, 0
	v_mov_b32_e32 v10, v1
	v_mad_u64_u32 v[10:11], s[6:7], s19, v11, v[10:11]
	v_mov_b32_e32 v1, v10
	v_add_u32_e32 v11, 0x2d0, v58
	v_lshl_add_u64 v[26:27], v[0:1], 3, v[2:3]
	v_mad_u64_u32 v[0:1], s[6:7], s18, v11, 0
	v_mov_b32_e32 v10, v1
	v_mad_u64_u32 v[10:11], s[6:7], s19, v11, v[10:11]
	v_mov_b32_e32 v1, v10
	v_add_u32_e32 v11, 0x320, v58
	v_lshl_add_u64 v[28:29], v[0:1], 3, v[2:3]
	;; [unrolled: 6-line block ×3, first 2 shown]
	v_mad_u64_u32 v[0:1], s[6:7], s18, v11, 0
	v_mov_b32_e32 v10, v1
	v_mad_u64_u32 v[10:11], s[6:7], s19, v11, v[10:11]
	v_mov_b32_e32 v1, v10
	v_lshl_add_u64 v[36:37], v[0:1], 3, v[2:3]
	global_load_dwordx2 v[10:11], v[26:27], off
	global_load_dwordx2 v[34:35], v[28:29], off
	;; [unrolled: 1-line block ×4, first 2 shown]
	v_add_u32_e32 v29, 0x3c0, v58
	v_mad_u64_u32 v[26:27], s[6:7], s18, v29, 0
	v_mov_b32_e32 v28, v27
	v_mad_u64_u32 v[28:29], s[6:7], s19, v29, v[28:29]
	v_add_u32_e32 v31, 0x410, v58
	v_mov_b32_e32 v27, v28
	v_mad_u64_u32 v[28:29], s[6:7], s18, v31, 0
	v_mov_b32_e32 v30, v29
	v_mad_u64_u32 v[30:31], s[6:7], s19, v31, v[30:31]
	v_mov_b32_e32 v29, v30
	v_add_u32_e32 v31, 0x460, v58
	v_lshl_add_u64 v[36:37], v[28:29], 3, v[2:3]
	v_mad_u64_u32 v[28:29], s[6:7], s18, v31, 0
	v_mov_b32_e32 v30, v29
	v_add_u32_e32 v45, 0x4b0, v58
	v_mad_u64_u32 v[30:31], s[6:7], s19, v31, v[30:31]
	v_mad_u64_u32 v[42:43], s[6:7], s18, v45, 0
	v_lshl_add_u64 v[26:27], v[26:27], 3, v[2:3]
	v_mov_b32_e32 v29, v30
	v_mov_b32_e32 v44, v43
	v_lshl_add_u64 v[40:41], v[28:29], 3, v[2:3]
	global_load_dwordx2 v[30:31], v[26:27], off
	global_load_dwordx2 v[38:39], v[36:37], off
	;; [unrolled: 1-line block ×3, first 2 shown]
	v_mad_u64_u32 v[26:27], s[6:7], s19, v45, v[44:45]
	v_mov_b32_e32 v43, v26
	v_lshl_add_u64 v[2:3], v[42:43], 3, v[2:3]
	global_load_dwordx2 v[36:37], v[2:3], off
	v_mov_b32_e32 v64, v58
	s_waitcnt vmcnt(5)
	v_mov_b32_e32 v27, v0
	s_waitcnt vmcnt(3)
	;; [unrolled: 2-line block ×4, first 2 shown]
	v_mov_b32_e32 v26, v28
.LBB0_13:
	s_or_b64 exec, exec, s[0:1]
	v_sub_f32_e32 v44, v23, v31
	v_add_f32_e32 v42, v23, v23
	v_sub_f32_e32 v46, v9, v1
	v_mov_b32_e32 v43, v22
	v_sub_f32_e32 v2, v6, v10
	v_add_f32_e32 v3, v6, v6
	v_fma_f32 v31, v9, 2.0, -v46
	v_add_f32_e32 v48, v14, v14
	v_sub_f32_e32 v6, v16, v32
	v_sub_f32_e32 v9, v17, v33
	v_pk_add_f32 v[32:33], v[42:43], v[44:45] neg_lo:[0,1] neg_hi:[0,1]
	v_sub_f32_e32 v38, v14, v34
	v_sub_f32_e32 v43, v15, v35
	v_mov_b32_e32 v49, v19
	v_fma_f32 v42, v15, 2.0, -v43
	v_pk_add_f32 v[14:15], v[48:49], v[38:39] neg_lo:[0,1] neg_hi:[0,1]
	v_add_f32_e32 v50, v19, v19
	v_mov_b32_e32 v51, v18
	v_mov_b32_e32 v40, v15
	v_sub_f32_e32 v1, v13, v29
	v_fma_f32 v10, v17, 2.0, -v9
	s_waitcnt vmcnt(0)
	v_sub_f32_e32 v17, v25, v37
	v_pk_add_f32 v[34:35], v[50:51], v[40:41] neg_lo:[0,1] neg_hi:[0,1]
	v_fma_f32 v29, v13, 2.0, -v1
	v_sub_f32_e32 v13, v24, v36
	v_fma_f32 v23, v25, 2.0, -v17
	v_fma_f32 v18, v18, 2.0, -v35
	v_mov_b32_e32 v19, v38
	v_fma_f32 v0, v16, 2.0, -v6
	v_fma_f32 v16, v24, 2.0, -v13
	v_sub_f32_e32 v24, v10, v23
	v_add_f32_e32 v30, v6, v17
	v_pk_add_f32 v[40:41], v[14:15], v[18:19] neg_lo:[0,1] neg_hi:[0,1]
	v_pk_add_f32 v[18:19], v[14:15], v[18:19]
	v_fma_f32 v23, v10, 2.0, -v24
	v_sub_f32_e32 v13, v9, v13
	v_fma_f32 v10, v6, 2.0, -v30
	v_fma_f32 v36, v14, 2.0, -v40
	v_pk_add_f32 v[14:15], v[42:43], v[34:35] neg_lo:[0,1] neg_hi:[0,1]
	v_fma_f32 v18, v38, 2.0, -v19
	v_add_f32_e32 v28, v22, v22
	v_fma_f32 v9, v9, 2.0, -v13
	v_fma_f32 v35, v42, 2.0, -v14
	;; [unrolled: 1-line block ×3, first 2 shown]
	v_fmamk_f32 v37, v10, 0xbf3504f3, v18
	v_mov_b32_e32 v42, 2.0
	v_mov_b32_e32 v43, v2
	v_sub_f32_e32 v16, v0, v16
	v_mul_f32_e32 v17, 0x3f3504f3, v30
	v_mul_f32_e32 v25, 0x3f3504f3, v13
	v_fmac_f32_e32 v37, 0x3f3504f3, v9
	v_fmamk_f32 v39, v13, 0x3f3504f3, v15
	v_mov_b32_e32 v38, v14
	v_pk_add_f32 v[48:49], v[2:3], v[2:3]
	v_pk_add_f32 v[54:55], v[2:3], v[42:43] neg_lo:[0,1] neg_hi:[0,1]
	v_mov_b32_e32 v3, v28
	v_mov_b32_e32 v45, v33
	;; [unrolled: 1-line block ×3, first 2 shown]
	v_fma_f32 v0, v0, 2.0, -v16
	s_mov_b32 s0, 0x3f3504f3
	v_mov_b32_e32 v41, v19
	v_fmamk_f32 v6, v9, 0xbf3504f3, v22
	v_fma_f32 v63, v18, 2.0, -v37
	v_fmac_f32_e32 v19, 0x3f3504f3, v30
	v_mov_b32_e32 v18, v40
	v_pk_add_f32 v[16:17], v[38:39], v[16:17] neg_lo:[0,1] neg_hi:[0,1]
	v_pk_add_f32 v[44:45], v[2:3], v[44:45]
	v_pk_add_f32 v[2:3], v[2:3], v[32:33] neg_lo:[0,1] neg_hi:[0,1]
	v_add_f32_e32 v47, v8, v8
	v_pk_add_f32 v[8:9], v[12:13], v[26:27] neg_lo:[0,1] neg_hi:[0,1]
	v_pk_add_f32 v[18:19], v[18:19], v[24:25]
	v_pk_fma_f32 v[14:15], v[14:15], 2.0, v[16:17] op_sel_hi:[1,0,1] neg_lo:[0,0,1] neg_hi:[0,0,1]
	s_mov_b32 s7, 0x3ec3ef15
	s_mov_b32 s6, s0
	v_mov_b32_e32 v49, v55
	v_mov_b32_e32 v45, v3
	v_add_f32_e32 v70, v9, v1
	s_mov_b32 s8, 2.0
	v_pk_fma_f32 v[24:25], v[40:41], 2.0, v[18:19] op_sel_hi:[1,0,1] neg_lo:[0,0,1] neg_hi:[0,0,1]
	s_mov_b32 s1, 0x3f6c835e
	v_pk_mul_f32 v[40:41], v[14:15], s[6:7]
	v_mul_f32_e32 v14, 0x3f6c835e, v15
	v_pk_add_f32 v[2:3], v[48:49], v[44:45] neg_lo:[0,1] neg_hi:[0,1]
	v_fma_f32 v15, v12, 2.0, -v8
	v_pk_add_f32 v[12:13], v[46:47], v[8:9] neg_lo:[0,1] neg_hi:[0,1]
	v_fma_f32 v1, v9, 2.0, -v70
	v_pk_mul_f32 v[38:39], v[24:25], s[0:1]
	v_pk_mul_f32 v[42:43], v[16:17], s[0:1]
	v_mov_b32_e32 v30, v2
	v_add_f32_e32 v54, v44, v44
	v_sub_f32_e32 v45, v13, v15
	v_fma_f32 v8, v46, 2.0, -v12
	v_mul_f32_e32 v28, 0x3f3504f3, v1
	s_mov_b32 s1, s8
	v_fmac_f32_e32 v44, 0x3f3504f3, v70
	v_mul_f32_e32 v48, 0x3f3504f3, v8
	v_pk_fma_f32 v[8:9], v[12:13], s[0:1], v[44:45]
	v_pk_fma_f32 v[26:27], v[12:13], s[0:1], v[44:45] neg_lo:[0,0,1] neg_hi:[0,0,1]
	v_pk_add_f32 v[46:47], v[30:31], v[28:29] neg_lo:[0,1] neg_hi:[0,1]
	v_mov_b32_e32 v49, v3
	v_fmac_f32_e32 v6, 0xbf3504f3, v10
	v_mov_b32_e32 v9, v27
	v_pk_add_f32 v[26:27], v[48:49], v[46:47]
	v_fma_f32 v10, v22, 2.0, -v6
	v_mul_f32_e32 v50, 0x3f6c835e, v63
	v_mov_b32_e32 v51, v38
	v_pk_fma_f32 v[56:57], v[2:3], 2.0, v[26:27] op_sel_hi:[1,0,1] neg_lo:[0,0,1] neg_hi:[0,0,1]
	v_mul_f32_e32 v52, 0x3ec3ef15, v10
	v_fma_f32 v55, v55, 2.0, -v3
	v_mov_b32_e32 v53, v40
	v_pk_add_f32 v[2:3], v[56:57], v[50:51] neg_lo:[0,1] neg_hi:[0,1]
	v_mul_f32_e32 v22, 0x3ec3ef15, v25
	v_pk_add_f32 v[66:67], v[52:53], v[2:3]
	v_fmamk_f32 v2, v19, 0x3f6c835e, v8
	v_fmac_f32_e32 v2, 0x3ec3ef15, v17
	v_pk_add_f32 v[16:17], v[54:55], v[8:9] neg_lo:[0,1] neg_hi:[0,1]
	v_pk_mul_f32 v[52:53], v[18:19], s[6:7]
	v_mov_b32_e32 v34, v16
	v_mul_f32_e32 v24, 0x3ec3ef15, v37
	v_fma_f32 v9, v55, 2.0, -v17
	v_pk_add_f32 v[54:55], v[34:35], v[22:23] neg_lo:[0,1] neg_hi:[0,1]
	v_mov_b32_e32 v15, v17
	v_mov_b32_e32 v25, v52
	v_lshl_add_u32 v29, v58, 6, 0
	v_pk_fma_f32 v[50:51], v[56:57], 2.0, v[66:67] op_sel_hi:[1,0,1] neg_lo:[0,0,1] neg_hi:[0,0,1]
	v_mul_f32_e32 v68, 0x3f6c835e, v6
	v_mov_b32_e32 v1, 0x3f6c835e
	v_pk_add_f32 v[14:15], v[14:15], v[54:55]
	v_pk_mul_f32 v[56:57], v[12:13], s[0:1]
	v_pk_add_f32 v[12:13], v[26:27], v[24:25]
	v_mov_b32_e32 v69, v42
	ds_write2_b32 v29, v50, v51 offset0:1 offset1:2
	v_pk_fma_f32 v[16:17], v[16:17], 2.0, v[14:15] op_sel_hi:[1,0,1] neg_lo:[0,0,1] neg_hi:[0,0,1]
	v_pk_add_f32 v[50:51], v[36:37], v[0:1] neg_lo:[0,1] neg_hi:[0,1]
	v_pk_add_f32 v[12:13], v[68:69], v[12:13]
	v_add_f32_e32 v8, v8, v8
	ds_write2_b32 v29, v16, v17 offset0:3 offset1:4
	v_fma_f32 v3, v36, 2.0, -v50
	v_pk_fma_f32 v[16:17], v[26:27], 2.0, v[12:13] op_sel_hi:[1,0,1] neg_lo:[0,0,1] neg_hi:[0,0,1]
	ds_write2_b32 v29, v16, v17 offset0:5 offset1:6
	v_pk_add_f32 v[16:17], v[8:9], v[2:3] neg_lo:[0,1] neg_hi:[0,1]
	s_movk_i32 s0, 0xffc4
	s_load_dwordx2 s[2:3], s[2:3], 0x0
	v_fma_f32 v3, v9, 2.0, -v17
	ds_write2_b32 v29, v16, v17 offset0:7 offset1:8
	ds_write2_b32 v29, v66, v67 offset0:9 offset1:10
	;; [unrolled: 1-line block ×4, first 2 shown]
	ds_write2_b32 v29, v3, v2 offset1:15
	v_mad_i32_i24 v12, v58, s0, v29
	v_add_u32_e32 v13, 0x800, v12
	v_lshl_add_u32 v54, v59, 2, 0
	s_waitcnt lgkmcnt(0)
	s_barrier
	ds_read2st64_b32 v[8:9], v12 offset1:4
	v_add_u32_e32 v14, 0xa00, v12
	v_add_u32_e32 v15, 0x1000, v12
	v_add_u32_e32 v16, 0x400, v12
	v_add_u32_e32 v17, 0xc00, v12
	v_lshl_add_u32 v57, v60, 2, 0
	ds_read_b32 v46, v54
	ds_read_b32 v44, v57
	ds_read_b32 v62, v12 offset:4736
	ds_read2_b32 v[26:27], v13 offset1:80
	ds_read2_b32 v[22:23], v14 offset0:32 offset1:128
	ds_read2_b32 v[24:25], v15 offset1:80
	ds_read2_b32 v[12:13], v16 offset0:80 offset1:160
	ds_read2_b32 v[18:19], v17 offset0:80 offset1:160
	v_mul_i32_i24_e32 v3, 0xffffffc4, v58
	v_cmp_gt_u32_e64 s[0:1], 16, v58
	v_add_u32_e32 v66, v29, v3
	v_lshl_add_u32 v65, v61, 2, 0
	v_mul_f32_e32 v49, 0x3f3504f3, v70
                                        ; implicit-def: $vgpr15
                                        ; implicit-def: $vgpr17
	s_and_saveexec_b64 s[6:7], s[0:1]
	s_cbranch_execz .LBB0_15
; %bb.14:
	v_add_u32_e32 v3, 0xc0, v66
	ds_read_b32 v2, v65
	ds_read2st64_b32 v[16:17], v3 offset0:7 offset1:11
	ds_read2st64_b32 v[14:15], v3 offset0:15 offset1:19
.LBB0_15:
	s_or_b64 exec, exec, s[6:7]
	v_sub_f32_e32 v69, v7, v11
	v_fma_f32 v68, v7, 2.0, -v69
	v_pk_mul_f32 v[0:1], v[36:37], v[0:1]
	v_pk_add_f32 v[32:33], v[68:69], v[32:33] neg_lo:[0,1] neg_hi:[0,1]
	v_mov_b32_e32 v51, v1
	v_mov_b32_e32 v1, v56
	v_pk_fma_f32 v[68:69], v[68:69], 2.0, v[32:33] op_sel_hi:[1,0,1] neg_lo:[0,0,1] neg_hi:[0,0,1]
	v_pk_add_f32 v[0:1], v[32:33], v[0:1]
	v_sub_f32_e32 v37, v69, v48
	v_mov_b32_e32 v0, v32
	v_mov_b32_e32 v48, v45
	v_mov_b32_e32 v36, v68
	v_fma_f32 v70, v35, 2.0, -v55
	v_pk_add_f32 v[34:35], v[0:1], v[48:49] neg_lo:[0,1] neg_hi:[0,1]
	v_fma_f32 v30, v31, 2.0, -v47
	v_mov_b32_e32 v31, v28
	v_pk_fma_f32 v[0:1], v[32:33], 2.0, v[34:35] op_sel_hi:[1,0,1] neg_lo:[0,0,1] neg_hi:[0,0,1]
	v_pk_add_f32 v[30:31], v[36:37], v[30:31] neg_lo:[0,1] neg_hi:[0,1]
	v_pk_add_f32 v[32:33], v[0:1], v[40:41] neg_lo:[0,1] neg_hi:[0,1]
	v_pk_fma_f32 v[36:37], v[68:69], 2.0, v[30:31] op_sel_hi:[1,0,1] neg_lo:[0,0,1] neg_hi:[0,0,1]
	v_mul_f32_e32 v71, 0x3ec3ef15, v63
	v_pk_add_f32 v[32:33], v[32:33], v[38:39] neg_lo:[0,1] neg_hi:[0,1]
	v_fmamk_f32 v11, v10, 0xbf6c835e, v37
	v_mov_b32_e32 v10, v36
	v_pk_fma_f32 v[38:39], v[0:1], 2.0, v[32:33] op_sel_hi:[1,0,1] neg_lo:[0,0,1] neg_hi:[0,0,1]
	v_pk_add_f32 v[0:1], v[34:35], v[42:43]
	v_pk_add_f32 v[10:11], v[10:11], v[70:71] neg_lo:[0,1] neg_hi:[0,1]
	v_fmamk_f32 v7, v6, 0x3ec3ef15, v31
	v_mov_b32_e32 v6, v30
	v_pk_add_f32 v[0:1], v[0:1], v[52:53] neg_lo:[0,1] neg_hi:[0,1]
	v_pk_fma_f32 v[36:37], v[36:37], 2.0, v[10:11] op_sel_hi:[1,0,1] neg_lo:[0,0,1] neg_hi:[0,0,1]
	v_pk_add_f32 v[6:7], v[6:7], v[50:51] neg_lo:[0,1] neg_hi:[0,1]
	v_pk_fma_f32 v[34:35], v[34:35], 2.0, v[0:1] op_sel_hi:[1,0,1] neg_lo:[0,0,1] neg_hi:[0,0,1]
	v_pk_fma_f32 v[30:31], v[30:31], 2.0, v[6:7] op_sel_hi:[1,0,1] neg_lo:[0,0,1] neg_hi:[0,0,1]
	s_waitcnt lgkmcnt(0)
	s_barrier
	ds_write2_b64 v29, v[36:37], v[38:39] offset1:1
	ds_write2_b64 v29, v[30:31], v[34:35] offset0:2 offset1:3
	ds_write2_b64 v29, v[10:11], v[32:33] offset0:4 offset1:5
	;; [unrolled: 1-line block ×3, first 2 shown]
	v_add_u32_e32 v0, 0x800, v66
	s_waitcnt lgkmcnt(0)
	s_barrier
	ds_read2_b32 v[38:39], v0 offset1:80
	v_add_u32_e32 v0, 0xa00, v66
	ds_read2_b32 v[30:31], v0 offset0:32 offset1:128
	v_add_u32_e32 v0, 0x1000, v66
	ds_read2_b32 v[36:37], v0 offset1:80
	v_add_u32_e32 v0, 0x400, v66
	ds_read2_b32 v[10:11], v0 offset0:80 offset1:160
	v_add_u32_e32 v0, 0xc00, v66
	ds_read2st64_b32 v[6:7], v66 offset1:4
	ds_read2_b32 v[34:35], v0 offset0:80 offset1:160
	ds_read_b32 v3, v54
	ds_read_b32 v0, v57
	ds_read_b32 v56, v66 offset:4736
                                        ; implicit-def: $vgpr29
                                        ; implicit-def: $vgpr33
	s_and_saveexec_b64 s[6:7], s[0:1]
	s_cbranch_execz .LBB0_17
; %bb.16:
	v_add_u32_e32 v28, 0xc0, v66
	ds_read_b32 v1, v65
	ds_read2st64_b32 v[32:33], v28 offset0:7 offset1:11
	ds_read2st64_b32 v[28:29], v28 offset0:15 offset1:19
.LBB0_17:
	s_or_b64 exec, exec, s[6:7]
	v_lshlrev_b32_e32 v40, 5, v58
	v_and_b32_e32 v40, 0x1e0, v40
	v_and_b32_e32 v63, 15, v58
	global_load_dwordx2 v[68:69], v40, s[4:5]
	global_load_dwordx2 v[70:71], v40, s[4:5] offset:8
	global_load_dwordx2 v[72:73], v40, s[4:5] offset:24
	;; [unrolled: 1-line block ×6, first 2 shown]
	global_load_dword v61, v40, s[4:5] offset:28
	v_lshlrev_b32_e32 v40, 5, v63
	global_load_dword v67, v40, s[4:5]
	s_waitcnt lgkmcnt(0)
	s_barrier
	s_movk_i32 s6, 0x50
	s_waitcnt vmcnt(8)
	v_mul_f32_e32 v50, v7, v69
	s_waitcnt vmcnt(7)
	v_mul_f32_e32 v49, v38, v71
	;; [unrolled: 2-line block ×3, first 2 shown]
	v_mul_f32_e32 v43, v39, v71
	v_mul_f32_e32 v82, v27, v71
	;; [unrolled: 1-line block ×5, first 2 shown]
	s_waitcnt vmcnt(5)
	v_mul_f32_e32 v53, v31, v75
	s_waitcnt vmcnt(2)
	v_fmac_f32_e32 v52, v24, v81
	v_mul_f32_e32 v24, v28, v80
	s_waitcnt vmcnt(0)
	v_fmac_f32_e32 v50, v9, v67
	v_mul_f32_e32 v55, v26, v71
	v_mul_f32_e32 v85, v23, v75
	;; [unrolled: 1-line block ×7, first 2 shown]
	v_fmac_f32_e32 v49, v26, v77
	v_fmac_f32_e32 v43, v27, v77
	v_fma_f32 v27, v39, v77, -v82
	v_fmac_f32_e32 v47, v25, v81
	v_fma_f32 v39, v36, v81, -v83
	v_fma_f32 v36, v37, v81, -v84
	v_mul_f32_e32 v37, v14, v80
	v_fmac_f32_e32 v53, v23, v79
	v_mul_f32_e32 v80, v13, v69
	v_mul_f32_e32 v69, v9, v69
	;; [unrolled: 1-line block ×3, first 2 shown]
	v_fmac_f32_e32 v24, v14, v74
	v_add_f32_e32 v14, v8, v50
	v_mul_f32_e32 v40, v32, v76
	v_fmac_f32_e32 v41, v22, v77
	v_fma_f32 v22, v30, v77, -v71
	v_mul_f32_e32 v61, v15, v61
	v_fma_f32 v30, v31, v79, -v85
	v_fma_f32 v31, v7, v67, -v69
	v_fmac_f32_e32 v25, v15, v72
	v_add_f32_e32 v15, v49, v53
	v_add_f32_e32 v14, v14, v49
	v_mul_f32_e32 v76, v16, v76
	v_fma_f32 v55, v38, v77, -v55
	v_mul_f32_e32 v38, v33, v78
	v_fmac_f32_e32 v40, v16, v68
	v_sub_f32_e32 v16, v31, v39
	v_fma_f32 v15, -0.5, v15, v8
	v_add_f32_e32 v14, v14, v53
	v_mul_f32_e32 v78, v17, v78
	v_fmac_f32_e32 v51, v12, v67
	v_fmac_f32_e32 v45, v13, v67
	v_fma_f32 v13, v10, v67, -v87
	v_fma_f32 v12, v11, v67, -v80
	;; [unrolled: 1-line block ×3, first 2 shown]
	v_fmac_f32_e32 v38, v17, v70
	v_fma_f32 v10, v28, v74, -v37
	v_fma_f32 v11, v29, v72, -v61
	v_sub_f32_e32 v17, v55, v30
	v_sub_f32_e32 v28, v50, v49
	v_fmamk_f32 v29, v16, 0xbf737871, v15
	v_add_f32_e32 v32, v14, v52
	v_sub_f32_e32 v14, v52, v53
	v_fmac_f32_e32 v15, 0x3f737871, v16
	v_fmac_f32_e32 v29, 0xbf167918, v17
	v_add_f32_e32 v14, v28, v14
	v_fmac_f32_e32 v15, 0x3f167918, v17
	v_fmac_f32_e32 v29, 0x3e9e377a, v14
	;; [unrolled: 1-line block ×3, first 2 shown]
	v_add_f32_e32 v14, v50, v52
	v_fmac_f32_e32 v8, -0.5, v14
	v_fma_f32 v9, v33, v70, -v78
	v_fmamk_f32 v28, v17, 0x3f737871, v8
	v_sub_f32_e32 v14, v49, v50
	v_sub_f32_e32 v33, v53, v52
	v_fmac_f32_e32 v8, 0xbf737871, v17
	v_fmac_f32_e32 v28, 0xbf167918, v16
	v_add_f32_e32 v14, v14, v33
	v_fmac_f32_e32 v8, 0x3f167918, v16
	v_mul_f32_e32 v48, v34, v75
	v_fmac_f32_e32 v28, 0x3e9e377a, v14
	v_fmac_f32_e32 v8, 0x3e9e377a, v14
	v_add_f32_e32 v14, v46, v51
	v_fmac_f32_e32 v48, v18, v79
	v_add_f32_e32 v14, v14, v43
	v_add_f32_e32 v14, v14, v48
	v_mul_f32_e32 v86, v18, v75
	v_add_f32_e32 v16, v14, v47
	v_add_f32_e32 v14, v43, v48
	v_mul_f32_e32 v42, v35, v75
	v_mul_f32_e32 v75, v19, v75
	v_fma_f32 v23, v34, v79, -v86
	v_fma_f32 v17, -0.5, v14, v46
	v_sub_f32_e32 v14, v13, v36
	v_fma_f32 v18, v35, v79, -v75
	v_fmamk_f32 v33, v14, 0xbf737871, v17
	v_sub_f32_e32 v34, v27, v23
	v_sub_f32_e32 v35, v51, v43
	;; [unrolled: 1-line block ×3, first 2 shown]
	v_fmac_f32_e32 v17, 0x3f737871, v14
	v_fmac_f32_e32 v33, 0xbf167918, v34
	v_add_f32_e32 v35, v35, v37
	v_fmac_f32_e32 v17, 0x3f167918, v34
	v_fmac_f32_e32 v33, 0x3e9e377a, v35
	;; [unrolled: 1-line block ×3, first 2 shown]
	v_add_f32_e32 v35, v51, v47
	v_fmac_f32_e32 v46, -0.5, v35
	v_fmamk_f32 v35, v34, 0x3f737871, v46
	v_fmac_f32_e32 v46, 0xbf737871, v34
	v_fmac_f32_e32 v35, 0xbf167918, v14
	;; [unrolled: 1-line block ×3, first 2 shown]
	v_add_f32_e32 v14, v44, v45
	v_mul_f32_e32 v26, v56, v73
	v_mul_f32_e32 v73, v62, v73
	v_fmac_f32_e32 v42, v19, v79
	v_add_f32_e32 v14, v14, v41
	v_fmac_f32_e32 v26, v62, v81
	v_fma_f32 v19, v56, v81, -v73
	v_sub_f32_e32 v37, v43, v51
	v_sub_f32_e32 v56, v48, v47
	v_add_f32_e32 v14, v14, v42
	v_add_f32_e32 v37, v37, v56
	;; [unrolled: 1-line block ×4, first 2 shown]
	v_fmac_f32_e32 v35, 0x3e9e377a, v37
	v_fmac_f32_e32 v46, 0x3e9e377a, v37
	v_fma_f32 v37, -0.5, v14, v44
	v_sub_f32_e32 v14, v12, v19
	v_fmamk_f32 v56, v14, 0xbf737871, v37
	v_sub_f32_e32 v61, v22, v18
	v_sub_f32_e32 v62, v45, v41
	;; [unrolled: 1-line block ×3, first 2 shown]
	v_fmac_f32_e32 v37, 0x3f737871, v14
	v_fmac_f32_e32 v56, 0xbf167918, v61
	v_add_f32_e32 v62, v62, v67
	v_fmac_f32_e32 v37, 0x3f167918, v61
	v_fmac_f32_e32 v56, 0x3e9e377a, v62
	;; [unrolled: 1-line block ×3, first 2 shown]
	v_add_f32_e32 v62, v45, v26
	v_fmac_f32_e32 v44, -0.5, v62
	v_fmamk_f32 v62, v61, 0x3f737871, v44
	v_fmac_f32_e32 v44, 0xbf737871, v61
	v_fmac_f32_e32 v62, 0xbf167918, v14
	v_fmac_f32_e32 v44, 0x3f167918, v14
	v_lshrrev_b32_e32 v14, 4, v58
	v_mul_u32_u24_e32 v14, 0x50, v14
	v_or_b32_e32 v14, v14, v63
	v_lshl_add_u32 v14, v14, 2, 0
	ds_write2_b32 v14, v32, v29 offset1:16
	ds_write2_b32 v14, v28, v8 offset0:32 offset1:48
	ds_write_b32 v14, v15 offset:256
	v_lshrrev_b32_e32 v8, 4, v59
	v_mul_lo_u32 v8, v8, s6
	v_or_b32_e32 v8, v8, v63
	v_lshl_add_u32 v15, v8, 2, 0
	v_lshrrev_b32_e32 v8, 4, v60
	v_mul_lo_u32 v8, v8, s6
	v_sub_f32_e32 v67, v41, v45
	v_sub_f32_e32 v68, v42, v26
	v_or_b32_e32 v8, v8, v63
	v_add_f32_e32 v67, v67, v68
	ds_write2_b32 v15, v16, v33 offset1:16
	ds_write2_b32 v15, v35, v46 offset0:32 offset1:48
	ds_write_b32 v15, v17 offset:256
	v_lshl_add_u32 v16, v8, 2, 0
	v_lshl_add_u32 v8, v58, 2, 0
	v_fmac_f32_e32 v62, 0x3e9e377a, v67
	v_fmac_f32_e32 v44, 0x3e9e377a, v67
	ds_write2_b32 v16, v34, v56 offset1:16
	ds_write2_b32 v16, v62, v44 offset0:32 offset1:48
	ds_write_b32 v16, v37 offset:256
	s_and_saveexec_b64 s[6:7], s[0:1]
	s_cbranch_execz .LBB0_19
; %bb.18:
	v_add_f32_e32 v29, v40, v25
	v_sub_f32_e32 v17, v38, v40
	v_sub_f32_e32 v28, v24, v25
	v_fma_f32 v29, -0.5, v29, v2
	v_sub_f32_e32 v32, v9, v10
	v_add_f32_e32 v17, v17, v28
	v_sub_f32_e32 v28, v7, v11
	v_fmamk_f32 v33, v32, 0xbf737871, v29
	v_fmac_f32_e32 v29, 0x3f737871, v32
	v_fmac_f32_e32 v33, 0x3f167918, v28
	;; [unrolled: 1-line block ×5, first 2 shown]
	v_sub_f32_e32 v17, v40, v38
	v_sub_f32_e32 v34, v25, v24
	v_add_f32_e32 v17, v17, v34
	v_add_f32_e32 v34, v38, v24
	v_fma_f32 v34, -0.5, v34, v2
	v_add_f32_e32 v2, v2, v40
	v_fmamk_f32 v35, v28, 0x3f737871, v34
	v_fmac_f32_e32 v34, 0xbf737871, v28
	v_add_f32_e32 v2, v2, v38
	v_fmac_f32_e32 v35, 0x3f167918, v32
	v_fmac_f32_e32 v34, 0xbf167918, v32
	v_add_f32_e32 v2, v2, v24
	v_fmac_f32_e32 v35, 0x3e9e377a, v17
	v_fmac_f32_e32 v34, 0x3e9e377a, v17
	v_add_f32_e32 v2, v2, v25
	v_add_u32_e32 v17, 0x1000, v8
	ds_write2_b32 v17, v2, v34 offset0:176 offset1:192
	ds_write2_b32 v17, v29, v33 offset0:208 offset1:224
	ds_write_b32 v8, v35 offset:5056
.LBB0_19:
	s_or_b64 exec, exec, s[6:7]
	v_add_f32_e32 v17, v55, v30
	v_fma_f32 v17, -0.5, v17, v6
	v_sub_f32_e32 v28, v50, v52
	v_fmamk_f32 v32, v28, 0x3f737871, v17
	v_sub_f32_e32 v29, v49, v53
	v_sub_f32_e32 v33, v31, v55
	;; [unrolled: 1-line block ×3, first 2 shown]
	v_fmac_f32_e32 v17, 0xbf737871, v28
	v_fmac_f32_e32 v32, 0x3f167918, v29
	v_add_f32_e32 v33, v33, v34
	v_fmac_f32_e32 v17, 0xbf167918, v29
	v_fmac_f32_e32 v32, 0x3e9e377a, v33
	;; [unrolled: 1-line block ×3, first 2 shown]
	v_add_f32_e32 v33, v31, v39
	v_add_f32_e32 v2, v6, v31
	v_fmac_f32_e32 v6, -0.5, v33
	v_fmamk_f32 v33, v29, 0xbf737871, v6
	v_fmac_f32_e32 v6, 0x3f737871, v29
	v_fmac_f32_e32 v33, 0x3f167918, v28
	v_fmac_f32_e32 v6, 0xbf167918, v28
	v_add_f32_e32 v28, v3, v13
	v_add_f32_e32 v28, v28, v27
	;; [unrolled: 1-line block ×5, first 2 shown]
	v_sub_f32_e32 v31, v55, v31
	v_sub_f32_e32 v30, v30, v39
	v_add_f32_e32 v34, v28, v36
	v_add_f32_e32 v28, v27, v23
	;; [unrolled: 1-line block ×3, first 2 shown]
	v_fma_f32 v35, -0.5, v28, v3
	v_sub_f32_e32 v28, v51, v47
	v_fmac_f32_e32 v33, 0x3e9e377a, v30
	v_fmac_f32_e32 v6, 0x3e9e377a, v30
	v_fmamk_f32 v37, v28, 0x3f737871, v35
	v_sub_f32_e32 v29, v43, v48
	v_sub_f32_e32 v30, v13, v27
	;; [unrolled: 1-line block ×3, first 2 shown]
	v_fmac_f32_e32 v35, 0xbf737871, v28
	v_fmac_f32_e32 v37, 0x3f167918, v29
	v_add_f32_e32 v30, v30, v31
	v_fmac_f32_e32 v35, 0xbf167918, v29
	v_fmac_f32_e32 v37, 0x3e9e377a, v30
	v_fmac_f32_e32 v35, 0x3e9e377a, v30
	v_add_f32_e32 v30, v13, v36
	v_sub_f32_e32 v13, v27, v13
	v_sub_f32_e32 v23, v23, v36
	v_fmac_f32_e32 v3, -0.5, v30
	v_add_f32_e32 v13, v13, v23
	v_add_f32_e32 v23, v22, v18
	;; [unrolled: 1-line block ×3, first 2 shown]
	v_fmamk_f32 v39, v29, 0xbf737871, v3
	v_fmac_f32_e32 v3, 0x3f737871, v29
	v_fma_f32 v36, -0.5, v23, v0
	v_sub_f32_e32 v23, v45, v26
	v_fmac_f32_e32 v39, 0x3f167918, v28
	v_fmac_f32_e32 v3, 0xbf167918, v28
	v_fmamk_f32 v50, v23, 0x3f737871, v36
	v_sub_f32_e32 v26, v41, v42
	v_sub_f32_e32 v27, v12, v22
	v_sub_f32_e32 v28, v19, v18
	v_fmac_f32_e32 v36, 0xbf737871, v23
	v_fmac_f32_e32 v50, 0x3f167918, v26
	v_add_f32_e32 v27, v27, v28
	v_fmac_f32_e32 v36, 0xbf167918, v26
	v_fmac_f32_e32 v39, 0x3e9e377a, v13
	;; [unrolled: 1-line block ×3, first 2 shown]
	v_add_f32_e32 v13, v0, v12
	v_fmac_f32_e32 v50, 0x3e9e377a, v27
	v_fmac_f32_e32 v36, 0x3e9e377a, v27
	v_add_f32_e32 v27, v12, v19
	v_add_f32_e32 v13, v13, v22
	v_fmac_f32_e32 v0, -0.5, v27
	v_add_f32_e32 v13, v13, v18
	v_fmamk_f32 v41, v26, 0xbf737871, v0
	v_sub_f32_e32 v12, v22, v12
	v_sub_f32_e32 v18, v18, v19
	v_fmac_f32_e32 v0, 0x3f737871, v26
	v_fmac_f32_e32 v41, 0x3f167918, v23
	v_add_f32_e32 v12, v12, v18
	v_fmac_f32_e32 v0, 0xbf167918, v23
	v_fmac_f32_e32 v41, 0x3e9e377a, v12
	;; [unrolled: 1-line block ×3, first 2 shown]
	v_add_u32_e32 v12, 0x400, v66
	s_waitcnt lgkmcnt(0)
	s_barrier
	ds_read2st64_b32 v[22:23], v66 offset1:5
	ds_read_b32 v26, v54
	ds_read_b32 v43, v57
	ds_read2_b32 v[46:47], v12 offset0:144 offset1:224
	v_add_u32_e32 v12, 0x800, v66
	ds_read2_b32 v[48:49], v12 offset0:48 offset1:128
	v_add_u32_e32 v12, 0xa00, v66
	;; [unrolled: 2-line block ×4, first 2 shown]
	ds_read2_b32 v[44:45], v12 offset0:16 offset1:96
	ds_read_b32 v27, v65
	ds_read_b32 v42, v66 offset:4800
	v_add_f32_e32 v13, v13, v19
	s_waitcnt lgkmcnt(0)
	s_barrier
	ds_write2_b32 v14, v2, v32 offset1:16
	ds_write2_b32 v14, v33, v6 offset0:32 offset1:48
	ds_write_b32 v14, v17 offset:256
	ds_write2_b32 v15, v34, v37 offset1:16
	ds_write2_b32 v15, v39, v3 offset0:32 offset1:48
	ds_write_b32 v15, v35 offset:256
	;; [unrolled: 3-line block ×3, first 2 shown]
	s_and_saveexec_b64 s[6:7], s[0:1]
	s_cbranch_execz .LBB0_21
; %bb.20:
	v_add_f32_e32 v2, v9, v10
	v_fma_f32 v2, -0.5, v2, v1
	v_sub_f32_e32 v3, v40, v25
	v_fmamk_f32 v6, v3, 0x3f737871, v2
	v_sub_f32_e32 v12, v38, v24
	v_sub_f32_e32 v13, v7, v9
	;; [unrolled: 1-line block ×3, first 2 shown]
	v_fmac_f32_e32 v2, 0xbf737871, v3
	v_fmac_f32_e32 v6, 0x3f167918, v12
	v_add_f32_e32 v13, v13, v14
	v_fmac_f32_e32 v2, 0xbf167918, v12
	v_add_f32_e32 v0, v1, v7
	v_fmac_f32_e32 v6, 0x3e9e377a, v13
	v_fmac_f32_e32 v2, 0x3e9e377a, v13
	v_add_f32_e32 v13, v7, v11
	v_add_f32_e32 v0, v0, v9
	v_fmac_f32_e32 v1, -0.5, v13
	v_add_f32_e32 v0, v0, v10
	v_fmamk_f32 v13, v12, 0xbf737871, v1
	v_sub_f32_e32 v7, v9, v7
	v_sub_f32_e32 v9, v10, v11
	v_fmac_f32_e32 v1, 0x3f737871, v12
	v_add_f32_e32 v0, v0, v11
	v_fmac_f32_e32 v13, 0x3f167918, v3
	v_add_f32_e32 v7, v7, v9
	v_fmac_f32_e32 v1, 0xbf167918, v3
	v_add_u32_e32 v3, 0x1000, v8
	v_fmac_f32_e32 v13, 0x3e9e377a, v7
	v_fmac_f32_e32 v1, 0x3e9e377a, v7
	ds_write2_b32 v3, v0, v6 offset0:176 offset1:192
	ds_write2_b32 v3, v13, v1 offset0:208 offset1:224
	ds_write_b32 v8, v2 offset:5056
.LBB0_21:
	s_or_b64 exec, exec, s[6:7]
	s_waitcnt lgkmcnt(0)
	s_barrier
	s_and_saveexec_b64 s[0:1], vcc
	s_cbranch_execz .LBB0_23
; %bb.22:
	v_mul_u32_u24_e32 v0, 15, v58
	v_lshlrev_b32_e32 v51, 3, v0
	global_load_dwordx4 v[0:3], v51, s[4:5] offset:512
	ds_read2st64_b32 v[58:59], v66 offset1:5
	ds_read_b32 v67, v57
	ds_read_b32 v50, v54
	global_load_dwordx4 v[12:15], v51, s[4:5] offset:544
	global_load_dwordx4 v[8:11], v51, s[4:5] offset:560
	;; [unrolled: 1-line block ×3, first 2 shown]
	v_mul_lo_u32 v32, s3, v4
	v_mul_lo_u32 v33, s2, v5
	v_mad_u64_u32 v[62:63], s[0:1], s2, v4, 0
	global_load_dwordx4 v[4:7], v51, s[4:5] offset:528
	v_mad_u64_u32 v[24:25], s[0:1], s16, v64, 0
	v_add_u32_e32 v75, 0x50, v64
	v_add_u32_e32 v34, 0xa00, v66
	v_add3_u32 v63, v63, v33, v32
	v_mov_b32_e32 v72, v25
	v_mad_u64_u32 v[40:41], s[0:1], s16, v75, 0
	v_add_u32_e32 v35, 0x400, v66
	v_add_u32_e32 v36, 0x800, v66
	ds_read2_b32 v[56:57], v34 offset0:80 offset1:160
	ds_read2_b32 v[76:77], v35 offset0:144 offset1:224
	;; [unrolled: 1-line block ×3, first 2 shown]
	global_load_dwordx4 v[68:71], v51, s[4:5] offset:592
	v_mad_u64_u32 v[72:73], s[0:1], s17, v64, v[72:73]
	v_lshl_add_u64 v[62:63], v[62:63], 3, s[10:11]
	v_mov_b32_e32 v74, v41
	v_mov_b32_e32 v25, v72
	v_lshl_add_u64 v[20:21], v[20:21], 3, v[62:63]
	v_mad_u64_u32 v[62:63], s[0:1], s17, v75, v[74:75]
	global_load_dwordx4 v[72:75], v51, s[4:5] offset:608
	global_load_dwordx2 v[90:91], v51, s[4:5] offset:624
	v_add_u32_e32 v87, 0x1e0, v64
	v_mad_u64_u32 v[54:55], s[0:1], s16, v87, 0
	v_mov_b32_e32 v86, v55
	v_add_u32_e32 v79, 0xa0, v64
	v_add_u32_e32 v81, 0xf0, v64
	;; [unrolled: 1-line block ×3, first 2 shown]
	v_mad_u64_u32 v[86:87], s[0:1], s17, v87, v[86:87]
	v_or_b32_e32 v92, 0x280, v64
	v_mad_u64_u32 v[38:39], s[0:1], s16, v79, 0
	v_mad_u64_u32 v[36:37], s[0:1], s16, v81, 0
	v_mad_u64_u32 v[34:35], s[0:1], s16, v83, 0
	v_mov_b32_e32 v55, v86
	v_add_u32_e32 v85, 0x190, v64
	v_mov_b32_e32 v78, v39
	v_mov_b32_e32 v80, v37
	;; [unrolled: 1-line block ×3, first 2 shown]
	v_mad_u64_u32 v[32:33], s[0:1], s16, v85, 0
	v_mad_u64_u32 v[78:79], s[0:1], s17, v79, v[78:79]
	;; [unrolled: 1-line block ×4, first 2 shown]
	v_mov_b32_e32 v41, v62
	v_mov_b32_e32 v84, v33
	;; [unrolled: 1-line block ×6, first 2 shown]
	v_mad_u64_u32 v[84:85], s[0:1], s17, v85, v[84:85]
	v_mov_b32_e32 v37, v80
	v_mov_b32_e32 v33, v84
	;; [unrolled: 1-line block ×5, first 2 shown]
	v_add_u32_e32 v89, 0x230, v64
	v_mad_u64_u32 v[52:53], s[0:1], s16, v89, 0
	v_mov_b32_e32 v88, v53
	v_mad_u64_u32 v[88:89], s[0:1], s17, v89, v[88:89]
	s_mov_b32 s2, 0x3f6c835e
	s_mov_b32 s4, 0x3ec3ef15
	s_waitcnt vmcnt(7)
	v_mul_f32_e32 v51, v43, v3
	s_waitcnt lgkmcnt(4)
	v_mul_f32_e32 v86, v67, v3
	v_fma_f32 v63, v67, v2, -v51
	v_fmac_f32_e32 v86, v43, v2
	v_mad_u64_u32 v[2:3], s[0:1], s16, v92, 0
	v_mov_b32_e32 v62, v3
	v_mad_u64_u32 v[78:79], s[0:1], s17, v92, v[62:63]
	s_waitcnt vmcnt(4)
	v_mov_b32_e32 v81, v18
	v_mov_b32_e32 v18, v11
	;; [unrolled: 1-line block ×3, first 2 shown]
	s_waitcnt lgkmcnt(0)
	v_mov_b32_e32 v78, v61
	v_mov_b32_e32 v79, v57
	;; [unrolled: 1-line block ×3, first 2 shown]
	v_pk_mul_f32 v[10:11], v[82:83], v[18:19]
	v_mov_b32_e32 v84, v15
	v_pk_fma_f32 v[10:11], v[78:79], v[80:81], v[10:11] neg_lo:[0,0,1] neg_hi:[0,0,1]
	v_pk_mul_f32 v[18:19], v[78:79], v[18:19]
	v_mov_b32_e32 v78, v47
	v_mov_b32_e32 v79, v23
	s_waitcnt vmcnt(3)
	v_mov_b32_e32 v15, v6
	v_mov_b32_e32 v62, v58
	;; [unrolled: 1-line block ×4, first 2 shown]
	v_pk_mul_f32 v[6:7], v[78:79], v[14:15]
	v_pk_fma_f32 v[18:19], v[82:83], v[80:81], v[18:19]
	v_pk_fma_f32 v[80:81], v[58:59], v[84:85], v[6:7]
	v_pk_mul_f32 v[6:7], v[78:79], v[84:85]
	v_mov_b32_e32 v78, v0
	v_add_u32_e32 v0, 0x1000, v66
	ds_read2_b32 v[82:83], v0 offset0:16 offset1:96
	v_add_u32_e32 v0, 0xc00, v66
	ds_read2_b32 v[84:85], v0 offset0:112 offset1:192
	v_pk_fma_f32 v[14:15], v[58:59], v[14:15], v[6:7] neg_lo:[0,0,1] neg_hi:[0,0,1]
	v_mov_b32_e32 v6, v9
	v_mov_b32_e32 v7, v13
	;; [unrolled: 1-line block ×4, first 2 shown]
	v_add_u32_e32 v23, 0x2d0, v64
	v_mov_b32_e32 v61, v76
	v_mov_b32_e32 v9, v12
	v_pk_mul_f32 v[0:1], v[48:49], v[6:7]
	v_pk_mul_f32 v[12:13], v[48:49], v[8:9]
	v_pk_fma_f32 v[8:9], v[60:61], v[8:9], v[0:1] neg_lo:[0,0,1] neg_hi:[0,0,1]
	v_mad_u64_u32 v[0:1], s[0:1], s16, v23, 0
	v_mov_b32_e32 v58, v16
	v_mov_b32_e32 v16, v1
	s_waitcnt vmcnt(2)
	v_mov_b32_e32 v59, v68
	v_mov_b32_e32 v68, v17
	v_mad_u64_u32 v[16:17], s[0:1], s17, v23, v[16:17]
	v_pk_fma_f32 v[12:13], v[60:61], v[6:7], v[12:13]
	s_waitcnt vmcnt(1)
	v_mov_b32_e32 v6, v75
	v_mov_b32_e32 v47, v31
	v_mov_b32_e32 v75, v70
	v_mov_b32_e32 v1, v16
	s_waitcnt lgkmcnt(1)
	v_mov_b32_e32 v16, v83
	s_waitcnt lgkmcnt(0)
	v_mov_b32_e32 v17, v85
	v_mov_b32_e32 v7, v71
	v_pk_mul_f32 v[48:49], v[46:47], v[74:75]
	v_add_u32_e32 v23, 0x320, v64
	v_pk_fma_f32 v[48:49], v[16:17], v[6:7], v[48:49]
	v_pk_mul_f32 v[6:7], v[46:47], v[6:7]
	s_waitcnt vmcnt(0)
	v_mov_b32_e32 v46, v91
	v_pk_fma_f32 v[16:17], v[16:17], v[74:75], v[6:7] neg_lo:[0,0,1] neg_hi:[0,0,1]
	v_mad_u64_u32 v[6:7], s[0:1], s16, v23, 0
	v_mov_b32_e32 v60, v7
	v_mad_u64_u32 v[60:61], s[0:1], s17, v23, v[60:61]
	v_mov_b32_e32 v7, v60
	ds_read_b32 v60, v66 offset:4800
	ds_read_b32 v51, v65
	v_mov_b32_e32 v91, v72
	v_mov_b32_e32 v43, v44
	;; [unrolled: 1-line block ×4, first 2 shown]
	v_pk_mul_f32 v[44:45], v[42:43], v[90:91]
	v_add_u32_e32 v23, 0x370, v64
	s_waitcnt lgkmcnt(1)
	v_pk_fma_f32 v[44:45], v[60:61], v[46:47], v[44:45]
	v_pk_mul_f32 v[42:43], v[42:43], v[46:47]
	v_mad_u64_u32 v[46:47], s[0:1], s16, v23, 0
	v_pk_fma_f32 v[42:43], v[60:61], v[90:91], v[42:43] neg_lo:[0,0,1] neg_hi:[0,0,1]
	v_mov_b32_e32 v60, v47
	v_mad_u64_u32 v[60:61], s[0:1], s17, v23, v[60:61]
	v_add_u32_e32 v23, 0x3c0, v64
	v_mov_b32_e32 v47, v60
	v_mad_u64_u32 v[60:61], s[0:1], s16, v23, 0
	v_mov_b32_e32 v66, v61
	v_mad_u64_u32 v[66:67], s[0:1], s17, v23, v[66:67]
	v_add_u32_e32 v23, 0x410, v64
	v_mov_b32_e32 v61, v66
	v_mad_u64_u32 v[66:67], s[0:1], s16, v23, 0
	;; [unrolled: 5-line block ×3, first 2 shown]
	v_mov_b32_e32 v72, v71
	v_mad_u64_u32 v[72:73], s[0:1], s17, v23, v[72:73]
	v_mov_b32_e32 v71, v72
	v_pk_mul_f32 v[72:73], v[26:27], v[4:5]
	s_waitcnt lgkmcnt(0)
	v_pk_mul_f32 v[4:5], v[50:51], v[4:5]
	v_mov_b32_e32 v57, v84
	v_pk_fma_f32 v[4:5], v[26:27], v[78:79], v[4:5]
	v_pk_mul_f32 v[26:27], v[28:29], v[68:69]
	v_pk_add_f32 v[30:31], v[12:13], v[44:45] neg_lo:[0,1] neg_hi:[0,1]
	v_pk_mul_f32 v[44:45], v[56:57], v[68:69]
	v_pk_fma_f32 v[50:51], v[50:51], v[78:79], v[72:73] neg_lo:[0,0,1] neg_hi:[0,0,1]
	v_mov_b32_e32 v23, v86
	v_pk_fma_f32 v[26:27], v[56:57], v[58:59], v[26:27] neg_lo:[0,0,1] neg_hi:[0,0,1]
	v_pk_fma_f32 v[28:29], v[28:29], v[58:59], v[44:45]
	v_pk_add_f32 v[10:11], v[62:63], v[10:11] neg_lo:[0,1] neg_hi:[0,1]
	v_pk_add_f32 v[48:49], v[80:81], v[48:49] neg_lo:[0,1] neg_hi:[0,1]
	;; [unrolled: 1-line block ×7, first 2 shown]
	v_pk_fma_f32 v[44:45], v[62:63], 2.0, v[10:11] op_sel_hi:[1,0,1] neg_lo:[0,0,1] neg_hi:[0,0,1]
	v_pk_fma_f32 v[14:15], v[14:15], 2.0, v[16:17] op_sel_hi:[1,0,1] neg_lo:[0,0,1] neg_hi:[0,0,1]
	;; [unrolled: 1-line block ×8, first 2 shown]
	v_pk_add_f32 v[14:15], v[44:45], v[14:15] op_sel:[0,1] op_sel_hi:[1,0] neg_lo:[0,1] neg_hi:[0,1]
	v_pk_add_f32 v[56:57], v[22:23], v[56:57] op_sel:[1,0] op_sel_hi:[0,1] neg_lo:[0,1] neg_hi:[0,1]
	;; [unrolled: 1-line block ×4, first 2 shown]
	v_pk_add_f32 v[58:59], v[14:15], v[56:57]
	v_pk_add_f32 v[62:63], v[14:15], v[56:57] neg_lo:[0,1] neg_hi:[0,1]
	v_pk_add_f32 v[68:69], v[8:9], v[12:13]
	v_pk_add_f32 v[72:73], v[8:9], v[12:13] neg_lo:[0,1] neg_hi:[0,1]
	v_mov_b32_e32 v63, v59
	v_mov_b32_e32 v73, v69
	s_mov_b32 s0, 0x3f3504f3
	v_mov_b32_e32 v65, v10
	v_pk_mul_f32 v[74:75], v[72:73], s[0:1] op_sel_hi:[1,0]
	v_pk_fma_f32 v[76:77], v[72:73], s[0:1], v[62:63] op_sel_hi:[1,0,1]
	v_mov_b32_e32 v68, v69
	v_mov_b32_e32 v69, v72
	v_pk_add_f32 v[72:73], v[64:65], v[48:49] neg_lo:[0,1] neg_hi:[0,1]
	v_mov_b32_e32 v49, v48
	v_pk_add_f32 v[48:49], v[10:11], v[48:49] neg_lo:[0,1] neg_hi:[0,1]
	v_pk_add_f32 v[78:79], v[76:77], v[74:75] op_sel:[0,1] op_sel_hi:[1,0]
	v_mov_b32_e32 v48, v19
	v_pk_add_f32 v[74:75], v[76:77], v[74:75] op_sel:[0,1] op_sel_hi:[1,0] neg_lo:[0,1] neg_hi:[0,1]
	v_pk_add_f32 v[76:77], v[48:49], v[16:17]
	v_mov_b32_e32 v16, v17
	v_pk_add_f32 v[16:17], v[18:19], v[16:17]
	v_mov_b32_e32 v77, v49
	v_mov_b32_e32 v49, v11
	v_mov_b32_e32 v19, v10
	v_mov_b32_e32 v17, v73
	v_pk_fma_f32 v[10:11], v[48:49], 2.0, v[76:77] op_sel_hi:[1,0,1] neg_lo:[0,0,1] neg_hi:[0,0,1]
	v_pk_fma_f32 v[18:19], v[18:19], 2.0, v[16:17] op_sel_hi:[1,0,1] neg_lo:[0,0,1] neg_hi:[0,0,1]
	v_pk_mul_f32 v[48:49], v[10:11], s[0:1] op_sel_hi:[1,0]
	v_pk_fma_f32 v[10:11], v[10:11], s[0:1], v[18:19] op_sel_hi:[1,0,1] neg_lo:[1,0,0] neg_hi:[1,0,0]
	v_mov_b32_e32 v58, v59
	v_pk_add_f32 v[72:73], v[10:11], v[48:49] op_sel:[0,1] op_sel_hi:[1,0]
	v_pk_add_f32 v[10:11], v[10:11], v[48:49] op_sel:[0,1] op_sel_hi:[1,0] neg_lo:[0,1] neg_hi:[0,1]
	v_mov_b32_e32 v49, v26
	v_pk_add_f32 v[48:49], v[48:49], v[30:31] neg_lo:[0,1] neg_hi:[0,1]
	v_mov_b32_e32 v31, v30
	v_mov_b32_e32 v10, v29
	v_pk_add_f32 v[30:31], v[26:27], v[30:31] neg_lo:[0,1] neg_hi:[0,1]
	v_pk_add_f32 v[80:81], v[10:11], v[42:43]
	v_mov_b32_e32 v10, v43
	v_mov_b32_e32 v81, v31
	v_pk_add_f32 v[30:31], v[28:29], v[10:11]
	v_mov_b32_e32 v42, v29
	v_mov_b32_e32 v43, v27
	;; [unrolled: 1-line block ×4, first 2 shown]
	v_pk_fma_f32 v[26:27], v[42:43], 2.0, v[80:81] op_sel_hi:[1,0,1] neg_lo:[0,0,1] neg_hi:[0,0,1]
	v_pk_fma_f32 v[28:29], v[28:29], 2.0, v[30:31] op_sel_hi:[1,0,1] neg_lo:[0,0,1] neg_hi:[0,0,1]
	v_pk_mul_f32 v[42:43], v[26:27], s[0:1] op_sel_hi:[1,0]
	v_pk_fma_f32 v[26:27], v[26:27], s[0:1], v[28:29] op_sel_hi:[1,0,1] neg_lo:[1,0,0] neg_hi:[1,0,0]
	v_mov_b32_e32 v73, v11
	v_pk_add_f32 v[48:49], v[26:27], v[42:43] op_sel:[0,1] op_sel_hi:[1,0]
	v_pk_add_f32 v[26:27], v[26:27], v[42:43] op_sel:[0,1] op_sel_hi:[1,0] neg_lo:[0,1] neg_hi:[0,1]
	v_fma_f32 v10, v28, 2.0, -v48
	v_mov_b32_e32 v49, v27
	v_fma_f32 v65, v29, 2.0, -v27
	v_pk_mul_f32 v[26:27], v[48:49], s[2:3] op_sel_hi:[1,0]
	v_pk_fma_f32 v[28:29], v[48:49], s[4:5], v[72:73] op_sel_hi:[1,0,1]
	v_mov_b32_e32 v59, v62
	v_pk_add_f32 v[42:43], v[28:29], v[26:27] op_sel:[0,1] op_sel_hi:[1,0]
	v_pk_add_f32 v[26:27], v[28:29], v[26:27] op_sel:[0,1] op_sel_hi:[1,0] neg_lo:[0,1] neg_hi:[0,1]
	v_mov_b32_e32 v28, v50
	v_mov_b32_e32 v43, v27
	;; [unrolled: 1-line block ×8, first 2 shown]
	v_pk_fma_f32 v[14:15], v[44:45], 2.0, v[56:57] op_sel_hi:[1,0,1] neg_lo:[0,0,1] neg_hi:[0,0,1]
	v_mov_b32_e32 v29, v4
	v_mov_b32_e32 v44, v8
	;; [unrolled: 1-line block ×3, first 2 shown]
	v_pk_fma_f32 v[28:29], v[28:29], 2.0, v[44:45] op_sel_hi:[1,0,1] neg_lo:[0,0,1] neg_hi:[0,0,1]
	v_mov_b32_e32 v4, v51
	v_mov_b32_e32 v44, v9
	;; [unrolled: 1-line block ×3, first 2 shown]
	v_pk_fma_f32 v[4:5], v[4:5], 2.0, v[44:45] op_sel_hi:[1,0,1] neg_lo:[0,0,1] neg_hi:[0,0,1]
	v_pk_fma_f32 v[26:27], v[26:27], 2.0, v[22:23] op_sel_hi:[1,0,1] neg_lo:[0,0,1] neg_hi:[0,0,1]
	v_pk_add_f32 v[4:5], v[28:29], v[4:5] neg_lo:[0,1] neg_hi:[0,1]
	v_pk_add_f32 v[14:15], v[26:27], v[14:15] neg_lo:[0,1] neg_hi:[0,1]
	v_pk_fma_f32 v[50:51], v[76:77], s[0:1], v[16:17] op_sel_hi:[1,0,1]
	v_pk_add_f32 v[44:45], v[14:15], v[4:5]
	v_pk_add_f32 v[48:49], v[14:15], v[4:5] neg_lo:[0,1] neg_hi:[0,1]
	v_fma_f32 v9, v19, 2.0, -v11
	v_mov_b32_e32 v45, v49
	v_pk_mul_f32 v[48:49], v[76:77], s[0:1] op_sel_hi:[1,0]
	v_pk_fma_f32 v[76:77], v[80:81], s[0:1], v[30:31] op_sel_hi:[1,0,1]
	v_pk_add_f32 v[56:57], v[50:51], v[48:49] op_sel:[0,1] op_sel_hi:[1,0]
	v_pk_add_f32 v[48:49], v[50:51], v[48:49] op_sel:[0,1] op_sel_hi:[1,0] neg_lo:[0,1] neg_hi:[0,1]
	v_pk_mul_f32 v[50:51], v[80:81], s[0:1] op_sel_hi:[1,0]
	v_mov_b32_e32 v57, v49
	v_pk_add_f32 v[80:81], v[76:77], v[50:51] op_sel:[0,1] op_sel_hi:[1,0]
	v_pk_add_f32 v[50:51], v[76:77], v[50:51] op_sel:[0,1] op_sel_hi:[1,0] neg_lo:[0,1] neg_hi:[0,1]
	v_fma_f32 v12, v18, 2.0, -v72
	v_mov_b32_e32 v81, v51
	v_fmamk_f32 v11, v65, 0xbf6c835e, v9
	v_fmamk_f32 v76, v80, 0x3f6c835e, v56
	v_pk_fma_f32 v[16:17], v[16:17], 2.0, v[56:57] op_sel_hi:[1,0,1] neg_lo:[0,0,1] neg_hi:[0,0,1]
	v_pk_fma_f32 v[30:31], v[30:31], 2.0, v[80:81] op_sel_hi:[1,0,1] neg_lo:[0,0,1] neg_hi:[0,0,1]
	v_fmac_f32_e32 v11, 0xbec3ef15, v10
	v_fmamk_f32 v10, v10, 0xbf6c835e, v12
	v_fmamk_f32 v77, v51, 0x3f6c835e, v49
	v_fmac_f32_e32 v76, 0x3ec3ef15, v51
	v_pk_mul_f32 v[50:51], v[30:31], s[2:3] op_sel_hi:[1,0]
	v_pk_fma_f32 v[30:31], v[30:31], s[4:5], v[16:17] op_sel_hi:[1,0,1] neg_lo:[1,0,0] neg_hi:[1,0,0]
	v_fmac_f32_e32 v10, 0x3ec3ef15, v65
	v_fma_f32 v48, v56, 2.0, -v76
	v_pk_add_f32 v[56:57], v[30:31], v[50:51] op_sel:[0,1] op_sel_hi:[1,0]
	v_pk_add_f32 v[30:31], v[30:31], v[50:51] op_sel:[0,1] op_sel_hi:[1,0] neg_lo:[0,1] neg_hi:[0,1]
	v_lshl_add_u64 v[50:51], v[60:61], 3, v[20:21]
	v_fma_f32 v60, v12, 2.0, -v10
	v_mov_b32_e32 v12, v13
	v_mov_b32_e32 v13, v8
	v_fma_f32 v61, v9, 2.0, -v11
	v_pk_fma_f32 v[22:23], v[22:23], 2.0, v[58:59] op_sel_hi:[1,0,1] neg_lo:[0,0,1] neg_hi:[0,0,1]
	v_pk_fma_f32 v[8:9], v[12:13], 2.0, v[68:69] op_sel_hi:[1,0,1] neg_lo:[0,0,1] neg_hi:[0,0,1]
	v_pk_fma_f32 v[4:5], v[28:29], 2.0, v[4:5] op_sel_hi:[1,0,1] neg_lo:[0,0,1] neg_hi:[0,0,1]
	v_pk_mul_f32 v[12:13], v[8:9], s[0:1] op_sel_hi:[1,0]
	v_pk_fma_f32 v[8:9], v[8:9], s[0:1], v[22:23] op_sel_hi:[1,0,1] neg_lo:[1,0,0] neg_hi:[1,0,0]
	v_lshl_add_u64 v[18:19], v[24:25], 3, v[20:21]
	v_pk_add_f32 v[58:59], v[8:9], v[12:13] op_sel:[0,1] op_sel_hi:[1,0]
	v_pk_add_f32 v[8:9], v[8:9], v[12:13] op_sel:[0,1] op_sel_hi:[1,0] neg_lo:[0,1] neg_hi:[0,1]
	v_mov_b32_e32 v57, v31
	v_mov_b32_e32 v59, v9
	v_pk_fma_f32 v[8:9], v[26:27], 2.0, v[14:15] op_sel_hi:[1,0,1] neg_lo:[0,0,1] neg_hi:[0,0,1]
	v_lshl_add_u64 v[24:25], v[40:41], 3, v[20:21]
	v_pk_add_f32 v[4:5], v[8:9], v[4:5] op_sel:[0,1] op_sel_hi:[1,0] neg_lo:[0,1] neg_hi:[0,1]
	v_lshl_add_u64 v[30:31], v[38:39], 3, v[20:21]
	v_pk_fma_f32 v[8:9], v[8:9], 2.0, v[4:5] op_sel_hi:[1,0,1] neg_lo:[0,0,1] neg_hi:[0,0,1]
	global_store_dwordx2 v[18:19], v[8:9], off
	global_store_dwordx2 v[24:25], v[60:61], off
	v_pk_fma_f32 v[8:9], v[22:23], 2.0, v[58:59] op_sel_hi:[1,0,1] neg_lo:[0,0,1] neg_hi:[0,0,1]
	v_lshl_add_u64 v[36:37], v[36:37], 3, v[20:21]
	global_store_dwordx2 v[30:31], v[8:9], off
	v_pk_fma_f32 v[8:9], v[16:17], 2.0, v[56:57] op_sel_hi:[1,0,1] neg_lo:[0,0,1] neg_hi:[0,0,1]
	v_lshl_add_u64 v[34:35], v[34:35], 3, v[20:21]
	;; [unrolled: 3-line block ×3, first 2 shown]
	v_mov_b32_e32 v75, v79
	global_store_dwordx2 v[34:35], v[8:9], off
	v_pk_fma_f32 v[8:9], v[72:73], 2.0, v[42:43] op_sel_hi:[1,0,1] neg_lo:[0,0,1] neg_hi:[0,0,1]
	global_store_dwordx2 v[32:33], v[8:9], off
	v_pk_fma_f32 v[8:9], v[62:63], 2.0, v[74:75] op_sel_hi:[1,0,1] neg_lo:[0,0,1] neg_hi:[0,0,1]
	v_mov_b32_e32 v53, v88
	v_fmac_f32_e32 v77, 0xbec3ef15, v80
	v_lshl_add_u64 v[38:39], v[54:55], 3, v[20:21]
	v_lshl_add_u64 v[2:3], v[2:3], 3, v[20:21]
	v_lshl_add_u64 v[0:1], v[0:1], 3, v[20:21]
	v_mov_b32_e32 v12, v9
	v_mov_b32_e32 v13, v8
	v_fma_f32 v49, v49, 2.0, -v77
	v_lshl_add_u64 v[40:41], v[52:53], 3, v[20:21]
	v_lshl_add_u64 v[6:7], v[6:7], 3, v[20:21]
	;; [unrolled: 1-line block ×5, first 2 shown]
	global_store_dwordx2 v[38:39], v[12:13], off
	global_store_dwordx2 v[40:41], v[48:49], off
	;; [unrolled: 1-line block ×8, first 2 shown]
	v_mov_b32_e32 v0, v79
	v_mov_b32_e32 v1, v74
	v_add_u32_e32 v3, 0x4b0, v64
	global_store_dwordx2 v[54:55], v[0:1], off
	v_mad_u64_u32 v[0:1], s[0:1], s16, v3, 0
	v_mov_b32_e32 v2, v1
	v_mad_u64_u32 v[2:3], s[0:1], s17, v3, v[2:3]
	v_mov_b32_e32 v1, v2
	v_lshl_add_u64 v[0:1], v[0:1], 3, v[20:21]
	global_store_dwordx2 v[0:1], v[76:77], off
.LBB0_23:
	s_endpgm
	.section	.rodata,"a",@progbits
	.p2align	6, 0x0
	.amdhsa_kernel fft_rtc_back_len1280_factors_16_5_16_wgs_80_tpt_80_halfLds_sp_op_CI_CI_sbrr_dirReg
		.amdhsa_group_segment_fixed_size 0
		.amdhsa_private_segment_fixed_size 0
		.amdhsa_kernarg_size 104
		.amdhsa_user_sgpr_count 2
		.amdhsa_user_sgpr_dispatch_ptr 0
		.amdhsa_user_sgpr_queue_ptr 0
		.amdhsa_user_sgpr_kernarg_segment_ptr 1
		.amdhsa_user_sgpr_dispatch_id 0
		.amdhsa_user_sgpr_kernarg_preload_length 0
		.amdhsa_user_sgpr_kernarg_preload_offset 0
		.amdhsa_user_sgpr_private_segment_size 0
		.amdhsa_uses_dynamic_stack 0
		.amdhsa_enable_private_segment 0
		.amdhsa_system_sgpr_workgroup_id_x 1
		.amdhsa_system_sgpr_workgroup_id_y 0
		.amdhsa_system_sgpr_workgroup_id_z 0
		.amdhsa_system_sgpr_workgroup_info 0
		.amdhsa_system_vgpr_workitem_id 0
		.amdhsa_next_free_vgpr 93
		.amdhsa_next_free_sgpr 32
		.amdhsa_accum_offset 96
		.amdhsa_reserve_vcc 1
		.amdhsa_float_round_mode_32 0
		.amdhsa_float_round_mode_16_64 0
		.amdhsa_float_denorm_mode_32 3
		.amdhsa_float_denorm_mode_16_64 3
		.amdhsa_dx10_clamp 1
		.amdhsa_ieee_mode 1
		.amdhsa_fp16_overflow 0
		.amdhsa_tg_split 0
		.amdhsa_exception_fp_ieee_invalid_op 0
		.amdhsa_exception_fp_denorm_src 0
		.amdhsa_exception_fp_ieee_div_zero 0
		.amdhsa_exception_fp_ieee_overflow 0
		.amdhsa_exception_fp_ieee_underflow 0
		.amdhsa_exception_fp_ieee_inexact 0
		.amdhsa_exception_int_div_zero 0
	.end_amdhsa_kernel
	.text
.Lfunc_end0:
	.size	fft_rtc_back_len1280_factors_16_5_16_wgs_80_tpt_80_halfLds_sp_op_CI_CI_sbrr_dirReg, .Lfunc_end0-fft_rtc_back_len1280_factors_16_5_16_wgs_80_tpt_80_halfLds_sp_op_CI_CI_sbrr_dirReg
                                        ; -- End function
	.section	.AMDGPU.csdata,"",@progbits
; Kernel info:
; codeLenInByte = 8616
; NumSgprs: 38
; NumVgprs: 93
; NumAgprs: 0
; TotalNumVgprs: 93
; ScratchSize: 0
; MemoryBound: 0
; FloatMode: 240
; IeeeMode: 1
; LDSByteSize: 0 bytes/workgroup (compile time only)
; SGPRBlocks: 4
; VGPRBlocks: 11
; NumSGPRsForWavesPerEU: 38
; NumVGPRsForWavesPerEU: 93
; AccumOffset: 96
; Occupancy: 5
; WaveLimiterHint : 1
; COMPUTE_PGM_RSRC2:SCRATCH_EN: 0
; COMPUTE_PGM_RSRC2:USER_SGPR: 2
; COMPUTE_PGM_RSRC2:TRAP_HANDLER: 0
; COMPUTE_PGM_RSRC2:TGID_X_EN: 1
; COMPUTE_PGM_RSRC2:TGID_Y_EN: 0
; COMPUTE_PGM_RSRC2:TGID_Z_EN: 0
; COMPUTE_PGM_RSRC2:TIDIG_COMP_CNT: 0
; COMPUTE_PGM_RSRC3_GFX90A:ACCUM_OFFSET: 23
; COMPUTE_PGM_RSRC3_GFX90A:TG_SPLIT: 0
	.text
	.p2alignl 6, 3212836864
	.fill 256, 4, 3212836864
	.type	__hip_cuid_3e08173752d92d35,@object ; @__hip_cuid_3e08173752d92d35
	.section	.bss,"aw",@nobits
	.globl	__hip_cuid_3e08173752d92d35
__hip_cuid_3e08173752d92d35:
	.byte	0                               ; 0x0
	.size	__hip_cuid_3e08173752d92d35, 1

	.ident	"AMD clang version 19.0.0git (https://github.com/RadeonOpenCompute/llvm-project roc-6.4.0 25133 c7fe45cf4b819c5991fe208aaa96edf142730f1d)"
	.section	".note.GNU-stack","",@progbits
	.addrsig
	.addrsig_sym __hip_cuid_3e08173752d92d35
	.amdgpu_metadata
---
amdhsa.kernels:
  - .agpr_count:     0
    .args:
      - .actual_access:  read_only
        .address_space:  global
        .offset:         0
        .size:           8
        .value_kind:     global_buffer
      - .offset:         8
        .size:           8
        .value_kind:     by_value
      - .actual_access:  read_only
        .address_space:  global
        .offset:         16
        .size:           8
        .value_kind:     global_buffer
      - .actual_access:  read_only
        .address_space:  global
        .offset:         24
        .size:           8
        .value_kind:     global_buffer
      - .actual_access:  read_only
        .address_space:  global
        .offset:         32
        .size:           8
        .value_kind:     global_buffer
      - .offset:         40
        .size:           8
        .value_kind:     by_value
      - .actual_access:  read_only
        .address_space:  global
        .offset:         48
        .size:           8
        .value_kind:     global_buffer
      - .actual_access:  read_only
        .address_space:  global
        .offset:         56
        .size:           8
        .value_kind:     global_buffer
      - .offset:         64
        .size:           4
        .value_kind:     by_value
      - .actual_access:  read_only
        .address_space:  global
        .offset:         72
        .size:           8
        .value_kind:     global_buffer
      - .actual_access:  read_only
        .address_space:  global
        .offset:         80
        .size:           8
        .value_kind:     global_buffer
      - .actual_access:  read_only
        .address_space:  global
        .offset:         88
        .size:           8
        .value_kind:     global_buffer
      - .actual_access:  write_only
        .address_space:  global
        .offset:         96
        .size:           8
        .value_kind:     global_buffer
    .group_segment_fixed_size: 0
    .kernarg_segment_align: 8
    .kernarg_segment_size: 104
    .language:       OpenCL C
    .language_version:
      - 2
      - 0
    .max_flat_workgroup_size: 80
    .name:           fft_rtc_back_len1280_factors_16_5_16_wgs_80_tpt_80_halfLds_sp_op_CI_CI_sbrr_dirReg
    .private_segment_fixed_size: 0
    .sgpr_count:     38
    .sgpr_spill_count: 0
    .symbol:         fft_rtc_back_len1280_factors_16_5_16_wgs_80_tpt_80_halfLds_sp_op_CI_CI_sbrr_dirReg.kd
    .uniform_work_group_size: 1
    .uses_dynamic_stack: false
    .vgpr_count:     93
    .vgpr_spill_count: 0
    .wavefront_size: 64
amdhsa.target:   amdgcn-amd-amdhsa--gfx950
amdhsa.version:
  - 1
  - 2
...

	.end_amdgpu_metadata
